;; amdgpu-corpus repo=tuanlda78202/gpt-oss-amd kind=compiled arch=gfx906 opt=O3
	.amdgcn_target "amdgcn-amd-amdhsa--gfx906"
	.amdhsa_code_object_version 6
	.text
	.protected	_Z11topk_kernelPfS_Piiii ; -- Begin function _Z11topk_kernelPfS_Piiii
	.globl	_Z11topk_kernelPfS_Piiii
	.p2align	8
	.type	_Z11topk_kernelPfS_Piiii,@function
_Z11topk_kernelPfS_Piiii:               ; @_Z11topk_kernelPfS_Piiii
; %bb.0:
	s_load_dwordx4 s[12:15], s[4:5], 0x18
	s_waitcnt lgkmcnt(0)
	s_cmp_ge_i32 s6, s12
	s_cbranch_scc1 .LBB0_19
; %bb.1:
	s_load_dwordx4 s[8:11], s[4:5], 0x0
	s_load_dwordx2 s[16:17], s[4:5], 0x10
	v_cmp_gt_i32_e32 vcc, s13, v0
	v_mov_b32_e32 v3, -1
	v_mov_b32_e32 v2, 0xff7ff023
	v_lshlrev_b32_e32 v1, 2, v0
	s_and_saveexec_b64 s[0:1], vcc
	s_cbranch_execz .LBB0_3
; %bb.2:
	s_mul_i32 s2, s13, s6
	s_ashr_i32 s3, s2, 31
	s_lshl_b64 s[2:3], s[2:3], 2
	s_waitcnt lgkmcnt(0)
	s_add_u32 s2, s8, s2
	s_addc_u32 s3, s9, s3
	global_load_dword v2, v1, s[2:3]
	v_mov_b32_e32 v3, v0
.LBB0_3:
	s_or_b64 exec, exec, s[0:1]
	v_cmp_eq_u32_e32 vcc, 0, v0
	s_waitcnt vmcnt(0)
	ds_write2st64_b32 v1, v2, v3 offset1:16
	s_waitcnt lgkmcnt(0)
	s_barrier
	s_and_saveexec_b64 s[8:9], vcc
	s_cbranch_execz .LBB0_17
; %bb.4:
	s_min_i32 s7, s14, s13
	s_cmp_lt_i32 s7, 1
	s_cbranch_scc1 .LBB0_17
; %bb.5:
	s_add_i32 s12, s13, -2
	s_add_i32 s15, s13, 7
	s_mov_b32 s20, 0
	s_mov_b32 s18, 4
	s_branch .LBB0_7
.LBB0_6:                                ;   in Loop: Header=BB0_7 Depth=1
	s_add_i32 s18, s18, 4
	s_add_i32 s15, s15, 7
	s_cmp_lg_u32 s19, s7
	s_mov_b32 s20, s19
	s_cbranch_scc0 .LBB0_17
.LBB0_7:                                ; =>This Loop Header: Depth=1
                                        ;     Child Loop BB0_10 Depth 2
                                        ;     Child Loop BB0_14 Depth 2
	s_lshl_b32 s21, s20, 2
	s_waitcnt lgkmcnt(0)
	v_mov_b32_e32 v2, s21
	ds_read_b32 v2, v2
	s_add_i32 s19, s20, 1
	s_cmp_ge_i32 s19, s13
	s_mov_b32 s0, s20
	s_cbranch_scc1 .LBB0_15
; %bb.8:                                ;   in Loop: Header=BB0_7 Depth=1
	s_not_b32 s0, s20
	s_add_i32 s0, s13, s0
	s_and_b32 s0, s0, 7
	s_cmp_eq_u32 s0, 0
	s_mov_b32 s0, s20
	s_waitcnt lgkmcnt(0)
	v_mov_b32_e32 v3, v2
	s_mov_b32 s22, s19
	s_cbranch_scc1 .LBB0_12
; %bb.9:                                ;   in Loop: Header=BB0_7 Depth=1
	s_and_b32 s1, s15, 7
	s_mov_b32 s2, 0
	s_mov_b32 s3, s18
	v_mov_b32_e32 v3, v2
	s_mov_b32 s0, s20
.LBB0_10:                               ;   Parent Loop BB0_7 Depth=1
                                        ; =>  This Inner Loop Header: Depth=2
	v_mov_b32_e32 v4, s3
	ds_read_b32 v4, v4
	s_add_i32 s2, s2, 1
	s_add_i32 s4, s20, s2
	s_waitcnt lgkmcnt(0)
	v_cmp_gt_f32_e32 vcc, v4, v3
	s_and_b64 s[22:23], vcc, exec
	s_cselect_b32 s0, s4, s0
	s_add_i32 s3, s3, 4
	v_cndmask_b32_e32 v3, v3, v4, vcc
	s_cmp_lg_u32 s1, s2
	s_cbranch_scc1 .LBB0_10
; %bb.11:                               ;   in Loop: Header=BB0_7 Depth=1
	s_add_i32 s22, s4, 1
.LBB0_12:                               ;   in Loop: Header=BB0_7 Depth=1
	s_sub_i32 s1, s12, s20
	s_cmp_lt_u32 s1, 7
	s_cbranch_scc1 .LBB0_15
; %bb.13:                               ;   in Loop: Header=BB0_7 Depth=1
	s_lshl_b32 s23, s22, 2
.LBB0_14:                               ;   Parent Loop BB0_7 Depth=1
                                        ; =>  This Inner Loop Header: Depth=2
	v_mov_b32_e32 v10, s23
	ds_read2_b32 v[4:5], v10 offset1:1
	ds_read2_b32 v[6:7], v10 offset0:2 offset1:3
	ds_read2_b32 v[8:9], v10 offset0:4 offset1:5
	;; [unrolled: 1-line block ×3, first 2 shown]
	s_waitcnt lgkmcnt(3)
	v_cmp_gt_f32_e32 vcc, v4, v3
	v_cndmask_b32_e32 v3, v3, v4, vcc
	s_and_b64 s[2:3], vcc, exec
	v_cmp_gt_f32_e32 vcc, v5, v3
	s_cselect_b32 s4, s22, s0
	s_add_i32 s5, s22, 1
	v_cndmask_b32_e32 v3, v3, v5, vcc
	s_and_b64 s[2:3], vcc, exec
	s_waitcnt lgkmcnt(2)
	v_cmp_gt_f32_e64 s[0:1], v6, v3
	s_cselect_b32 s4, s5, s4
	s_add_i32 s5, s22, 2
	v_cndmask_b32_e64 v3, v3, v6, s[0:1]
	s_and_b64 s[0:1], s[0:1], exec
	v_cmp_gt_f32_e32 vcc, v7, v3
	s_cselect_b32 s26, s5, s4
	s_add_i32 s27, s22, 3
	v_cndmask_b32_e32 v3, v3, v7, vcc
	s_and_b64 s[24:25], vcc, exec
	s_waitcnt lgkmcnt(1)
	v_cmp_gt_f32_e64 s[2:3], v8, v3
	s_cselect_b32 s24, s27, s26
	s_add_i32 s25, s22, 4
	v_cndmask_b32_e64 v3, v3, v8, s[2:3]
	s_and_b64 s[2:3], s[2:3], exec
	v_cmp_gt_f32_e64 s[0:1], v9, v3
	s_cselect_b32 s2, s25, s24
	s_add_i32 s3, s22, 5
	v_cndmask_b32_e64 v3, v3, v9, s[0:1]
	s_and_b64 s[0:1], s[0:1], exec
	s_waitcnt lgkmcnt(0)
	v_cmp_gt_f32_e64 s[4:5], v10, v3
	s_cselect_b32 s2, s3, s2
	s_add_i32 s3, s22, 6
	v_cndmask_b32_e64 v3, v3, v10, s[4:5]
	s_and_b64 s[0:1], s[4:5], exec
	v_cmp_gt_f32_e32 vcc, v11, v3
	s_cselect_b32 s2, s3, s2
	s_add_i32 s3, s22, 7
	s_and_b64 s[0:1], vcc, exec
	s_cselect_b32 s0, s3, s2
	s_add_i32 s23, s23, 32
	s_add_i32 s22, s22, 8
	v_cndmask_b32_e32 v3, v3, v11, vcc
	s_cmp_eq_u32 s22, s13
	s_cbranch_scc0 .LBB0_14
.LBB0_15:                               ;   in Loop: Header=BB0_7 Depth=1
	s_cmp_lg_u32 s0, s20
	s_cbranch_scc0 .LBB0_6
; %bb.16:                               ;   in Loop: Header=BB0_7 Depth=1
	s_lshl_b32 s0, s0, 2
	v_mov_b32_e32 v5, s0
	ds_read2st64_b32 v[3:4], v5 offset1:16
	v_mov_b32_e32 v6, s21
	ds_read_b32 v7, v6 offset:4096
	s_waitcnt lgkmcnt(1)
	ds_write_b32 v6, v3
	ds_write_b32 v6, v4 offset:4096
	s_waitcnt lgkmcnt(2)
	ds_write2st64_b32 v5, v2, v7 offset1:16
	s_branch .LBB0_6
.LBB0_17:
	s_or_b64 exec, exec, s[8:9]
	v_cmp_gt_i32_e32 vcc, s14, v0
	s_waitcnt lgkmcnt(0)
	s_barrier
	s_and_saveexec_b64 s[0:1], vcc
	s_cbranch_execz .LBB0_19
; %bb.18:
	v_or_b32_e32 v0, 0x1000, v1
	s_mul_i32 s0, s14, s6
	s_ashr_i32 s1, s0, 31
	ds_read_b32 v2, v1
	ds_read_b32 v0, v0
	s_lshl_b64 s[0:1], s[0:1], 2
	s_add_u32 s2, s10, s0
	s_addc_u32 s3, s11, s1
	s_add_u32 s0, s16, s0
	s_addc_u32 s1, s17, s1
	s_waitcnt lgkmcnt(1)
	global_store_dword v1, v2, s[2:3]
	s_waitcnt lgkmcnt(0)
	global_store_dword v1, v0, s[0:1]
.LBB0_19:
	s_endpgm
	.section	.rodata,"a",@progbits
	.p2align	6, 0x0
	.amdhsa_kernel _Z11topk_kernelPfS_Piiii
		.amdhsa_group_segment_fixed_size 8192
		.amdhsa_private_segment_fixed_size 0
		.amdhsa_kernarg_size 36
		.amdhsa_user_sgpr_count 6
		.amdhsa_user_sgpr_private_segment_buffer 1
		.amdhsa_user_sgpr_dispatch_ptr 0
		.amdhsa_user_sgpr_queue_ptr 0
		.amdhsa_user_sgpr_kernarg_segment_ptr 1
		.amdhsa_user_sgpr_dispatch_id 0
		.amdhsa_user_sgpr_flat_scratch_init 0
		.amdhsa_user_sgpr_private_segment_size 0
		.amdhsa_uses_dynamic_stack 0
		.amdhsa_system_sgpr_private_segment_wavefront_offset 0
		.amdhsa_system_sgpr_workgroup_id_x 1
		.amdhsa_system_sgpr_workgroup_id_y 0
		.amdhsa_system_sgpr_workgroup_id_z 0
		.amdhsa_system_sgpr_workgroup_info 0
		.amdhsa_system_vgpr_workitem_id 0
		.amdhsa_next_free_vgpr 29
		.amdhsa_next_free_sgpr 61
		.amdhsa_reserve_vcc 1
		.amdhsa_reserve_flat_scratch 0
		.amdhsa_float_round_mode_32 0
		.amdhsa_float_round_mode_16_64 0
		.amdhsa_float_denorm_mode_32 3
		.amdhsa_float_denorm_mode_16_64 3
		.amdhsa_dx10_clamp 1
		.amdhsa_ieee_mode 1
		.amdhsa_fp16_overflow 0
		.amdhsa_exception_fp_ieee_invalid_op 0
		.amdhsa_exception_fp_denorm_src 0
		.amdhsa_exception_fp_ieee_div_zero 0
		.amdhsa_exception_fp_ieee_overflow 0
		.amdhsa_exception_fp_ieee_underflow 0
		.amdhsa_exception_fp_ieee_inexact 0
		.amdhsa_exception_int_div_zero 0
	.end_amdhsa_kernel
	.text
.Lfunc_end0:
	.size	_Z11topk_kernelPfS_Piiii, .Lfunc_end0-_Z11topk_kernelPfS_Piiii
                                        ; -- End function
	.set _Z11topk_kernelPfS_Piiii.num_vgpr, 12
	.set _Z11topk_kernelPfS_Piiii.num_agpr, 0
	.set _Z11topk_kernelPfS_Piiii.numbered_sgpr, 28
	.set _Z11topk_kernelPfS_Piiii.num_named_barrier, 0
	.set _Z11topk_kernelPfS_Piiii.private_seg_size, 0
	.set _Z11topk_kernelPfS_Piiii.uses_vcc, 1
	.set _Z11topk_kernelPfS_Piiii.uses_flat_scratch, 0
	.set _Z11topk_kernelPfS_Piiii.has_dyn_sized_stack, 0
	.set _Z11topk_kernelPfS_Piiii.has_recursion, 0
	.set _Z11topk_kernelPfS_Piiii.has_indirect_call, 0
	.section	.AMDGPU.csdata,"",@progbits
; Kernel info:
; codeLenInByte = 784
; TotalNumSgprs: 32
; NumVgprs: 12
; ScratchSize: 0
; MemoryBound: 0
; FloatMode: 240
; IeeeMode: 1
; LDSByteSize: 8192 bytes/workgroup (compile time only)
; SGPRBlocks: 8
; VGPRBlocks: 7
; NumSGPRsForWavesPerEU: 65
; NumVGPRsForWavesPerEU: 29
; Occupancy: 8
; WaveLimiterHint : 0
; COMPUTE_PGM_RSRC2:SCRATCH_EN: 0
; COMPUTE_PGM_RSRC2:USER_SGPR: 6
; COMPUTE_PGM_RSRC2:TRAP_HANDLER: 0
; COMPUTE_PGM_RSRC2:TGID_X_EN: 1
; COMPUTE_PGM_RSRC2:TGID_Y_EN: 0
; COMPUTE_PGM_RSRC2:TGID_Z_EN: 0
; COMPUTE_PGM_RSRC2:TIDIG_COMP_CNT: 0
	.section	.AMDGPU.gpr_maximums,"",@progbits
	.set amdgpu.max_num_vgpr, 0
	.set amdgpu.max_num_agpr, 0
	.set amdgpu.max_num_sgpr, 0
	.section	.AMDGPU.csdata,"",@progbits
	.type	__hip_cuid_9a7b6be16784c33a,@object ; @__hip_cuid_9a7b6be16784c33a
	.section	.bss,"aw",@nobits
	.globl	__hip_cuid_9a7b6be16784c33a
__hip_cuid_9a7b6be16784c33a:
	.byte	0                               ; 0x0
	.size	__hip_cuid_9a7b6be16784c33a, 1

	.ident	"AMD clang version 22.0.0git (https://github.com/RadeonOpenCompute/llvm-project roc-7.2.4 26084 f58b06dce1f9c15707c5f808fd002e18c2accf7e)"
	.section	".note.GNU-stack","",@progbits
	.addrsig
	.addrsig_sym __hip_cuid_9a7b6be16784c33a
	.amdgpu_metadata
---
amdhsa.kernels:
  - .args:
      - .address_space:  global
        .offset:         0
        .size:           8
        .value_kind:     global_buffer
      - .address_space:  global
        .offset:         8
        .size:           8
        .value_kind:     global_buffer
      - .address_space:  global
        .offset:         16
        .size:           8
        .value_kind:     global_buffer
      - .offset:         24
        .size:           4
        .value_kind:     by_value
      - .offset:         28
        .size:           4
        .value_kind:     by_value
      - .offset:         32
        .size:           4
        .value_kind:     by_value
    .group_segment_fixed_size: 8192
    .kernarg_segment_align: 8
    .kernarg_segment_size: 36
    .language:       OpenCL C
    .language_version:
      - 2
      - 0
    .max_flat_workgroup_size: 1024
    .name:           _Z11topk_kernelPfS_Piiii
    .private_segment_fixed_size: 0
    .sgpr_count:     32
    .sgpr_spill_count: 0
    .symbol:         _Z11topk_kernelPfS_Piiii.kd
    .uniform_work_group_size: 1
    .uses_dynamic_stack: false
    .vgpr_count:     12
    .vgpr_spill_count: 0
    .wavefront_size: 64
amdhsa.target:   amdgcn-amd-amdhsa--gfx906
amdhsa.version:
  - 1
  - 2
...

	.end_amdgpu_metadata
